;; amdgpu-corpus repo=zjin-lcf/HeCBench kind=compiled arch=gfx1250 opt=O3
	.amdgcn_target "amdgcn-amd-amdhsa--gfx1250"
	.amdhsa_code_object_version 6
	.text
	.protected	_Z15checkDuplicatesiPKi ; -- Begin function _Z15checkDuplicatesiPKi
	.globl	_Z15checkDuplicatesiPKi
	.p2align	8
	.type	_Z15checkDuplicatesiPKi,@function
_Z15checkDuplicatesiPKi:                ; @_Z15checkDuplicatesiPKi
; %bb.0:
	s_load_b64 s[0:1], s[0:1], 0x8
	v_mbcnt_lo_u32_b32 v2, -1, 0
	s_delay_alu instid0(VALU_DEP_1) | instskip(NEXT) | instid1(VALU_DEP_1)
	v_dual_lshrrev_b32 v5, 1, v0 :: v_dual_bitop2_b32 v3, 1, v2 bitop3:0x14
	v_bitop3_b32 v7, v5, v0, 1 bitop3:0x28
	v_xor_b32_e32 v6, 2, v2
	s_delay_alu instid0(VALU_DEP_3) | instskip(SKIP_1) | instid1(VALU_DEP_3)
	v_cmp_gt_i32_e32 vcc_lo, 32, v3
	v_cndmask_b32_e32 v3, v2, v3, vcc_lo
	v_cmp_gt_i32_e32 vcc_lo, 32, v6
	s_wait_kmcnt 0x0
	global_load_b32 v1, v0, s[0:1] scale_offset
	v_dual_cndmask_b32 v6, v2, v6 :: v_dual_lshlrev_b32 v3, 2, v3
	s_wait_loadcnt 0x0
	ds_bpermute_b32 v4, v3, v1
	s_wait_dscnt 0x0
	v_cmp_lt_i32_e32 vcc_lo, v1, v4
	v_cndmask_b32_e64 v8, 0, 1, vcc_lo
	s_delay_alu instid0(VALU_DEP_1) | instskip(SKIP_2) | instid1(VALU_DEP_2)
	v_cmp_eq_u32_e32 vcc_lo, v7, v8
	v_dual_lshlrev_b32 v6, 2, v6 :: v_dual_lshrrev_b32 v7, 2, v0
	v_cndmask_b32_e32 v1, v1, v4, vcc_lo
	v_bitop3_b32 v8, v7, v5, 1 bitop3:0x28
	ds_bpermute_b32 v4, v6, v1
	s_wait_dscnt 0x0
	v_cmp_lt_i32_e32 vcc_lo, v1, v4
	v_cndmask_b32_e64 v9, 0, 1, vcc_lo
	s_delay_alu instid0(VALU_DEP_1) | instskip(SKIP_3) | instid1(VALU_DEP_3)
	v_cmp_eq_u32_e32 vcc_lo, v8, v9
	v_xor_b32_e32 v8, 4, v2
	v_bitop3_b32 v9, v7, v0, 1 bitop3:0x28
	v_cndmask_b32_e32 v1, v1, v4, vcc_lo
	v_cmp_gt_i32_e32 vcc_lo, 32, v8
	ds_bpermute_b32 v4, v3, v1
	v_cndmask_b32_e32 v8, v2, v8, vcc_lo
	s_delay_alu instid0(VALU_DEP_1) | instskip(SKIP_3) | instid1(VALU_DEP_1)
	v_lshlrev_b32_e32 v8, 2, v8
	s_wait_dscnt 0x0
	v_cmp_lt_i32_e32 vcc_lo, v1, v4
	v_cndmask_b32_e64 v10, 0, 1, vcc_lo
	v_cmp_eq_u32_e32 vcc_lo, v9, v10
	v_lshrrev_b32_e32 v9, 3, v0
	v_cndmask_b32_e32 v1, v1, v4, vcc_lo
	s_delay_alu instid0(VALU_DEP_2) | instskip(SKIP_4) | instid1(VALU_DEP_1)
	v_bitop3_b32 v10, v9, v7, 1 bitop3:0x28
	ds_bpermute_b32 v4, v8, v1
	s_wait_dscnt 0x0
	v_cmp_lt_i32_e32 vcc_lo, v1, v4
	v_cndmask_b32_e64 v11, 0, 1, vcc_lo
	v_cmp_eq_u32_e32 vcc_lo, v10, v11
	v_bitop3_b32 v10, v9, v5, 1 bitop3:0x28
	v_cndmask_b32_e32 v1, v1, v4, vcc_lo
	ds_bpermute_b32 v4, v6, v1
	s_wait_dscnt 0x0
	v_cmp_lt_i32_e32 vcc_lo, v1, v4
	v_cndmask_b32_e64 v11, 0, 1, vcc_lo
	s_delay_alu instid0(VALU_DEP_1) | instskip(SKIP_3) | instid1(VALU_DEP_3)
	v_cmp_eq_u32_e32 vcc_lo, v10, v11
	v_xor_b32_e32 v10, 8, v2
	v_bitop3_b32 v11, v9, v0, 1 bitop3:0x28
	v_cndmask_b32_e32 v1, v1, v4, vcc_lo
	v_cmp_gt_i32_e32 vcc_lo, 32, v10
	ds_bpermute_b32 v4, v3, v1
	v_cndmask_b32_e32 v10, v2, v10, vcc_lo
	s_delay_alu instid0(VALU_DEP_1) | instskip(SKIP_3) | instid1(VALU_DEP_1)
	v_lshlrev_b32_e32 v10, 2, v10
	s_wait_dscnt 0x0
	v_cmp_lt_i32_e32 vcc_lo, v1, v4
	v_cndmask_b32_e64 v12, 0, 1, vcc_lo
	v_cmp_eq_u32_e32 vcc_lo, v11, v12
	v_lshrrev_b32_e32 v11, 4, v0
	v_cndmask_b32_e32 v1, v1, v4, vcc_lo
	s_delay_alu instid0(VALU_DEP_2)
	v_bitop3_b32 v9, v11, v9, 1 bitop3:0x28
	v_bitop3_b32 v7, v11, v7, 1 bitop3:0x28
	;; [unrolled: 1-line block ×3, first 2 shown]
	ds_bpermute_b32 v4, v10, v1
	s_wait_dscnt 0x0
	v_cmp_lt_i32_e32 vcc_lo, v1, v4
	v_cndmask_b32_e64 v12, 0, 1, vcc_lo
	s_delay_alu instid0(VALU_DEP_1)
	v_cmp_eq_u32_e32 vcc_lo, v9, v12
	v_cndmask_b32_e32 v1, v1, v4, vcc_lo
	ds_bpermute_b32 v4, v8, v1
	s_wait_dscnt 0x0
	v_cmp_lt_i32_e32 vcc_lo, v1, v4
	v_cndmask_b32_e64 v9, 0, 1, vcc_lo
	s_delay_alu instid0(VALU_DEP_1)
	v_cmp_eq_u32_e32 vcc_lo, v7, v9
	v_cndmask_b32_e32 v1, v1, v4, vcc_lo
	ds_bpermute_b32 v4, v6, v1
	s_wait_dscnt 0x0
	v_cmp_lt_i32_e32 vcc_lo, v1, v4
	v_cndmask_b32_e64 v7, 0, 1, vcc_lo
	s_delay_alu instid0(VALU_DEP_1) | instskip(SKIP_3) | instid1(VALU_DEP_3)
	v_cmp_eq_u32_e32 vcc_lo, v5, v7
	v_xor_b32_e32 v5, 16, v2
	v_bitop3_b32 v7, v11, v0, 1 bitop3:0x28
	v_cndmask_b32_e32 v1, v1, v4, vcc_lo
	v_cmp_gt_i32_e32 vcc_lo, 32, v5
	ds_bpermute_b32 v4, v3, v1
	v_cndmask_b32_e32 v5, v2, v5, vcc_lo
	s_delay_alu instid0(VALU_DEP_1) | instskip(SKIP_3) | instid1(VALU_DEP_1)
	v_lshlrev_b32_e32 v5, 2, v5
	s_wait_dscnt 0x0
	v_cmp_lt_i32_e32 vcc_lo, v1, v4
	v_cndmask_b32_e64 v9, 0, 1, vcc_lo
	v_cmp_eq_u32_e32 vcc_lo, v7, v9
	v_cndmask_b32_e32 v1, v1, v4, vcc_lo
	ds_bpermute_b32 v4, v5, v1
	v_and_b32_e32 v5, 16, v0
	s_delay_alu instid0(VALU_DEP_1)
	v_cmp_ne_u32_e32 vcc_lo, 0, v5
	v_and_b32_e32 v5, 8, v0
	s_wait_dscnt 0x0
	v_cmp_ge_i32_e64 s0, v1, v4
	s_xor_b32 vcc_lo, s0, vcc_lo
	v_cndmask_b32_e32 v1, v1, v4, vcc_lo
	v_cmp_ne_u32_e32 vcc_lo, 0, v5
	v_and_b32_e32 v5, 4, v0
	ds_bpermute_b32 v4, v10, v1
	s_wait_dscnt 0x0
	v_cmp_ge_i32_e64 s0, v1, v4
	s_xor_b32 vcc_lo, s0, vcc_lo
	v_cndmask_b32_e32 v1, v1, v4, vcc_lo
	v_cmp_ne_u32_e32 vcc_lo, 0, v5
	v_and_b32_e32 v5, 2, v0
	ds_bpermute_b32 v4, v8, v1
	s_wait_dscnt 0x0
	v_cmp_ge_i32_e64 s0, v1, v4
	s_xor_b32 vcc_lo, s0, vcc_lo
	v_cndmask_b32_e32 v1, v1, v4, vcc_lo
	v_cmp_ne_u32_e32 vcc_lo, 0, v5
	v_add_nc_u32_e32 v5, -1, v2
	ds_bpermute_b32 v4, v6, v1
	s_wait_dscnt 0x0
	v_cmp_ge_i32_e64 s0, v1, v4
	s_xor_b32 vcc_lo, s0, vcc_lo
	v_cmp_gt_i32_e64 s0, 0, v5
	v_cndmask_b32_e32 v1, v1, v4, vcc_lo
	s_delay_alu instid0(VALU_DEP_2)
	v_dual_cndmask_b32 v2, v5, v2, s0 :: v_dual_bitop2_b32 v4, 1, v0 bitop3:0x40
	ds_bpermute_b32 v3, v3, v1
	v_cmp_eq_u32_e32 vcc_lo, 1, v4
	v_lshlrev_b32_e32 v2, 2, v2
	s_wait_dscnt 0x0
	v_cmp_ge_i32_e64 s0, v1, v3
	s_xor_b32 vcc_lo, s0, vcc_lo
	s_delay_alu instid0(SALU_CYCLE_1)
	v_dual_cndmask_b32 v1, v1, v3, vcc_lo :: v_dual_bitop2_b32 v3, 31, v0 bitop3:0x40
	ds_bpermute_b32 v2, v2, v1
	v_cmp_ne_u32_e32 vcc_lo, 0, v3
	s_wait_dscnt 0x0
	v_cmp_eq_u32_e64 s0, v2, v1
	s_and_b32 s0, vcc_lo, s0
	s_delay_alu instid0(SALU_CYCLE_1) | instskip(NEXT) | instid1(VALU_DEP_1)
	v_cndmask_b32_e64 v1, 0, 1, s0
	v_cmp_ne_u32_e32 vcc_lo, 0, v1
	s_cmp_lg_u32 vcc_lo, 0
	s_cselect_b32 s0, -1, 0
	s_delay_alu instid0(SALU_CYCLE_1)
	v_cndmask_b32_e64 v1, 0, 1, s0
	s_get_pc_i64 s[0:1]
	s_add_nc_u64 s[0:1], s[0:1], hasDuplicate@rel64+4
	global_store_b32 v0, v1, s[0:1] scale_offset
	s_endpgm
	.section	.rodata,"a",@progbits
	.p2align	6, 0x0
	.amdhsa_kernel _Z15checkDuplicatesiPKi
		.amdhsa_group_segment_fixed_size 0
		.amdhsa_private_segment_fixed_size 0
		.amdhsa_kernarg_size 16
		.amdhsa_user_sgpr_count 2
		.amdhsa_user_sgpr_dispatch_ptr 0
		.amdhsa_user_sgpr_queue_ptr 0
		.amdhsa_user_sgpr_kernarg_segment_ptr 1
		.amdhsa_user_sgpr_dispatch_id 0
		.amdhsa_user_sgpr_kernarg_preload_length 0
		.amdhsa_user_sgpr_kernarg_preload_offset 0
		.amdhsa_user_sgpr_private_segment_size 0
		.amdhsa_wavefront_size32 1
		.amdhsa_uses_dynamic_stack 0
		.amdhsa_enable_private_segment 0
		.amdhsa_system_sgpr_workgroup_id_x 1
		.amdhsa_system_sgpr_workgroup_id_y 0
		.amdhsa_system_sgpr_workgroup_id_z 0
		.amdhsa_system_sgpr_workgroup_info 0
		.amdhsa_system_vgpr_workitem_id 0
		.amdhsa_next_free_vgpr 13
		.amdhsa_next_free_sgpr 2
		.amdhsa_named_barrier_count 0
		.amdhsa_reserve_vcc 1
		.amdhsa_float_round_mode_32 0
		.amdhsa_float_round_mode_16_64 0
		.amdhsa_float_denorm_mode_32 3
		.amdhsa_float_denorm_mode_16_64 3
		.amdhsa_fp16_overflow 0
		.amdhsa_memory_ordered 1
		.amdhsa_forward_progress 1
		.amdhsa_inst_pref_size 8
		.amdhsa_round_robin_scheduling 0
		.amdhsa_exception_fp_ieee_invalid_op 0
		.amdhsa_exception_fp_denorm_src 0
		.amdhsa_exception_fp_ieee_div_zero 0
		.amdhsa_exception_fp_ieee_overflow 0
		.amdhsa_exception_fp_ieee_underflow 0
		.amdhsa_exception_fp_ieee_inexact 0
		.amdhsa_exception_int_div_zero 0
	.end_amdhsa_kernel
	.text
.Lfunc_end0:
	.size	_Z15checkDuplicatesiPKi, .Lfunc_end0-_Z15checkDuplicatesiPKi
                                        ; -- End function
	.set _Z15checkDuplicatesiPKi.num_vgpr, 13
	.set _Z15checkDuplicatesiPKi.num_agpr, 0
	.set _Z15checkDuplicatesiPKi.numbered_sgpr, 2
	.set _Z15checkDuplicatesiPKi.num_named_barrier, 0
	.set _Z15checkDuplicatesiPKi.private_seg_size, 0
	.set _Z15checkDuplicatesiPKi.uses_vcc, 1
	.set _Z15checkDuplicatesiPKi.uses_flat_scratch, 0
	.set _Z15checkDuplicatesiPKi.has_dyn_sized_stack, 0
	.set _Z15checkDuplicatesiPKi.has_recursion, 0
	.set _Z15checkDuplicatesiPKi.has_indirect_call, 0
	.section	.AMDGPU.csdata,"",@progbits
; Kernel info:
; codeLenInByte = 912
; TotalNumSgprs: 4
; NumVgprs: 13
; ScratchSize: 0
; MemoryBound: 0
; FloatMode: 240
; IeeeMode: 1
; LDSByteSize: 0 bytes/workgroup (compile time only)
; SGPRBlocks: 0
; VGPRBlocks: 0
; NumSGPRsForWavesPerEU: 4
; NumVGPRsForWavesPerEU: 13
; NamedBarCnt: 0
; Occupancy: 16
; WaveLimiterHint : 0
; COMPUTE_PGM_RSRC2:SCRATCH_EN: 0
; COMPUTE_PGM_RSRC2:USER_SGPR: 2
; COMPUTE_PGM_RSRC2:TRAP_HANDLER: 0
; COMPUTE_PGM_RSRC2:TGID_X_EN: 1
; COMPUTE_PGM_RSRC2:TGID_Y_EN: 0
; COMPUTE_PGM_RSRC2:TGID_Z_EN: 0
; COMPUTE_PGM_RSRC2:TIDIG_COMP_CNT: 0
	.text
	.protected	_Z18checkDuplicateMaskiPKi ; -- Begin function _Z18checkDuplicateMaskiPKi
	.globl	_Z18checkDuplicateMaskiPKi
	.p2align	8
	.type	_Z18checkDuplicateMaskiPKi,@function
_Z18checkDuplicateMaskiPKi:             ; @_Z18checkDuplicateMaskiPKi
; %bb.0:
	s_load_b64 s[0:1], s[0:1], 0x8
	v_mbcnt_lo_u32_b32 v13, -1, 0
	v_dual_lshrrev_b32 v7, 1, v0 :: v_dual_bitop2_b32 v6, 31, v0 bitop3:0x40
	s_delay_alu instid0(VALU_DEP_2) | instskip(SKIP_1) | instid1(VALU_DEP_3)
	v_xor_b32_e32 v1, 1, v13
	v_xor_b32_e32 v2, 2, v13
	v_bitop3_b32 v11, v7, v0, 1 bitop3:0x28
	s_delay_alu instid0(VALU_DEP_3)
	v_cmp_gt_i32_e32 vcc_lo, 32, v1
	v_cndmask_b32_e32 v1, v13, v1, vcc_lo
	s_wait_kmcnt 0x0
	global_load_b32 v3, v0, s[0:1] scale_offset
	v_lshlrev_b32_e32 v1, 2, v1
	ds_bpermute_b32 v4, v1, v6
	s_wait_dscnt 0x0
	v_cmp_lt_i32_e32 vcc_lo, v6, v4
	s_wait_loadcnt 0x0
	ds_bpermute_b32 v5, v1, v3
	s_wait_dscnt 0x0
	v_cmp_eq_u32_e64 s0, v3, v5
	v_cmp_lt_i32_e64 s1, v3, v5
	s_and_b32 s0, s0, vcc_lo
	v_cmp_gt_i32_e32 vcc_lo, 32, v2
	s_or_b32 s0, s1, s0
	s_delay_alu instid0(SALU_CYCLE_1) | instskip(SKIP_1) | instid1(VALU_DEP_2)
	v_cndmask_b32_e64 v8, 0, 1, s0
	v_cndmask_b32_e32 v2, v13, v2, vcc_lo
	v_cmp_eq_u32_e32 vcc_lo, v11, v8
	s_delay_alu instid0(VALU_DEP_2) | instskip(SKIP_4) | instid1(VALU_DEP_1)
	v_dual_cndmask_b32 v3, v3, v5 :: v_dual_lshlrev_b32 v2, 2, v2
	v_cndmask_b32_e32 v4, v6, v4, vcc_lo
	ds_bpermute_b32 v5, v2, v3
	ds_bpermute_b32 v9, v2, v4
	v_lshrrev_b32_e32 v10, 2, v0
	v_bitop3_b32 v8, v10, v7, 1 bitop3:0x28
	s_wait_dscnt 0x1
	v_cmp_eq_u32_e32 vcc_lo, v3, v5
	s_wait_dscnt 0x0
	v_cmp_lt_i32_e64 s0, v4, v9
	v_cmp_lt_i32_e64 s1, v3, v5
	s_and_b32 s0, vcc_lo, s0
	s_delay_alu instid0(SALU_CYCLE_1) | instskip(NEXT) | instid1(SALU_CYCLE_1)
	s_or_b32 s0, s1, s0
	v_cndmask_b32_e64 v12, 0, 1, s0
	s_delay_alu instid0(VALU_DEP_1)
	v_cmp_eq_u32_e32 vcc_lo, v8, v12
	v_cndmask_b32_e32 v5, v3, v5, vcc_lo
	v_xor_b32_e32 v3, 4, v13
	v_cndmask_b32_e32 v4, v4, v9, vcc_lo
	v_bitop3_b32 v16, v10, v0, 1 bitop3:0x28
	ds_bpermute_b32 v9, v1, v5
	ds_bpermute_b32 v12, v1, v4
	s_wait_dscnt 0x1
	v_cmp_eq_u32_e32 vcc_lo, v5, v9
	v_cmp_lt_i32_e64 s1, v5, v9
	s_wait_dscnt 0x0
	v_cmp_lt_i32_e64 s0, v4, v12
	s_and_b32 s0, vcc_lo, s0
	v_cmp_gt_i32_e32 vcc_lo, 32, v3
	s_or_b32 s0, s1, s0
	s_delay_alu instid0(SALU_CYCLE_1) | instskip(SKIP_1) | instid1(VALU_DEP_2)
	v_cndmask_b32_e64 v14, 0, 1, s0
	v_cndmask_b32_e32 v3, v13, v3, vcc_lo
	v_cmp_eq_u32_e32 vcc_lo, v16, v14
	s_delay_alu instid0(VALU_DEP_2) | instskip(SKIP_4) | instid1(VALU_DEP_1)
	v_dual_lshlrev_b32 v3, 2, v3 :: v_dual_cndmask_b32 v5, v5, v9, vcc_lo
	v_cndmask_b32_e32 v4, v4, v12, vcc_lo
	ds_bpermute_b32 v9, v3, v5
	ds_bpermute_b32 v12, v3, v4
	v_lshrrev_b32_e32 v15, 3, v0
	v_bitop3_b32 v14, v15, v10, 1 bitop3:0x28
	s_wait_dscnt 0x1
	v_cmp_eq_u32_e32 vcc_lo, v5, v9
	s_wait_dscnt 0x0
	v_cmp_lt_i32_e64 s0, v4, v12
	v_cmp_lt_i32_e64 s1, v5, v9
	s_and_b32 s0, vcc_lo, s0
	s_delay_alu instid0(SALU_CYCLE_1) | instskip(NEXT) | instid1(SALU_CYCLE_1)
	s_or_b32 s0, s1, s0
	v_cndmask_b32_e64 v17, 0, 1, s0
	s_delay_alu instid0(VALU_DEP_1)
	v_cmp_eq_u32_e32 vcc_lo, v14, v17
	v_dual_cndmask_b32 v5, v5, v9 :: v_dual_cndmask_b32 v4, v4, v12
	v_bitop3_b32 v9, v15, v7, 1 bitop3:0x28
	ds_bpermute_b32 v12, v2, v5
	ds_bpermute_b32 v17, v2, v4
	s_wait_dscnt 0x1
	v_cmp_eq_u32_e32 vcc_lo, v5, v12
	s_wait_dscnt 0x0
	v_cmp_lt_i32_e64 s0, v4, v17
	v_cmp_lt_i32_e64 s1, v5, v12
	s_and_b32 s0, vcc_lo, s0
	s_delay_alu instid0(SALU_CYCLE_1) | instskip(NEXT) | instid1(SALU_CYCLE_1)
	s_or_b32 s0, s1, s0
	v_cndmask_b32_e64 v18, 0, 1, s0
	s_delay_alu instid0(VALU_DEP_1)
	v_cmp_eq_u32_e32 vcc_lo, v9, v18
	v_dual_cndmask_b32 v5, v5, v12 :: v_dual_cndmask_b32 v12, v4, v17
	v_bitop3_b32 v17, v15, v0, 1 bitop3:0x28
	ds_bpermute_b32 v18, v1, v5
	ds_bpermute_b32 v19, v1, v12
	v_xor_b32_e32 v4, 8, v13
	s_wait_dscnt 0x1
	v_cmp_eq_u32_e32 vcc_lo, v5, v18
	s_wait_dscnt 0x0
	v_cmp_lt_i32_e64 s0, v12, v19
	v_cmp_lt_i32_e64 s1, v5, v18
	s_and_b32 s0, vcc_lo, s0
	v_cmp_gt_i32_e32 vcc_lo, 32, v4
	s_or_b32 s0, s1, s0
	s_delay_alu instid0(SALU_CYCLE_1) | instskip(SKIP_1) | instid1(VALU_DEP_2)
	v_cndmask_b32_e64 v20, 0, 1, s0
	v_cndmask_b32_e32 v4, v13, v4, vcc_lo
	v_cmp_eq_u32_e32 vcc_lo, v17, v20
	s_delay_alu instid0(VALU_DEP_2) | instskip(SKIP_4) | instid1(VALU_DEP_1)
	v_dual_lshlrev_b32 v4, 2, v4 :: v_dual_cndmask_b32 v12, v12, v19, vcc_lo
	v_cndmask_b32_e32 v5, v5, v18, vcc_lo
	ds_bpermute_b32 v19, v4, v12
	ds_bpermute_b32 v18, v4, v5
	v_lshrrev_b32_e32 v20, 4, v0
	v_bitop3_b32 v15, v20, v15, 1 bitop3:0x28
	s_wait_dscnt 0x1
	v_cmp_lt_i32_e64 s0, v12, v19
	s_wait_dscnt 0x0
	v_cmp_eq_u32_e32 vcc_lo, v5, v18
	v_cmp_lt_i32_e64 s1, v5, v18
	s_and_b32 s0, vcc_lo, s0
	s_delay_alu instid0(SALU_CYCLE_1) | instskip(NEXT) | instid1(SALU_CYCLE_1)
	s_or_b32 s0, s1, s0
	v_cndmask_b32_e64 v21, 0, 1, s0
	s_delay_alu instid0(VALU_DEP_1)
	v_cmp_eq_u32_e32 vcc_lo, v15, v21
	v_cndmask_b32_e32 v5, v5, v18, vcc_lo
	v_bitop3_b32 v10, v20, v10, 1 bitop3:0x28
	ds_bpermute_b32 v18, v3, v5
	v_cndmask_b32_e32 v12, v12, v19, vcc_lo
	ds_bpermute_b32 v19, v3, v12
	s_wait_dscnt 0x1
	v_cmp_eq_u32_e32 vcc_lo, v5, v18
	v_cmp_lt_i32_e64 s1, v5, v18
	s_wait_dscnt 0x0
	v_cmp_lt_i32_e64 s0, v12, v19
	s_and_b32 s0, vcc_lo, s0
	s_delay_alu instid0(SALU_CYCLE_1) | instskip(NEXT) | instid1(SALU_CYCLE_1)
	s_or_b32 s0, s1, s0
	v_cndmask_b32_e64 v21, 0, 1, s0
	s_delay_alu instid0(VALU_DEP_1)
	v_cmp_eq_u32_e32 vcc_lo, v10, v21
	v_dual_cndmask_b32 v18, v5, v18, vcc_lo :: v_dual_cndmask_b32 v12, v12, v19, vcc_lo
	v_bitop3_b32 v5, v20, v7, 1 bitop3:0x28
	ds_bpermute_b32 v19, v2, v18
	ds_bpermute_b32 v21, v2, v12
	s_wait_dscnt 0x1
	v_cmp_eq_u32_e32 vcc_lo, v18, v19
	s_wait_dscnt 0x0
	v_cmp_lt_i32_e64 s0, v12, v21
	v_cmp_lt_i32_e64 s1, v18, v19
	s_and_b32 s0, vcc_lo, s0
	s_delay_alu instid0(SALU_CYCLE_1) | instskip(NEXT) | instid1(SALU_CYCLE_1)
	s_or_b32 s0, s1, s0
	v_cndmask_b32_e64 v7, 0, 1, s0
	s_delay_alu instid0(VALU_DEP_1)
	v_cmp_eq_u32_e32 vcc_lo, v5, v7
	v_bitop3_b32 v7, v20, v0, 1 bitop3:0x28
	v_dual_cndmask_b32 v18, v18, v19 :: v_dual_cndmask_b32 v19, v12, v21
	ds_bpermute_b32 v21, v1, v18
	ds_bpermute_b32 v22, v1, v19
	v_xor_b32_e32 v12, 16, v13
	s_wait_dscnt 0x1
	v_cmp_eq_u32_e32 vcc_lo, v18, v21
	s_wait_dscnt 0x0
	v_cmp_lt_i32_e64 s0, v19, v22
	v_cmp_lt_i32_e64 s1, v18, v21
	s_and_b32 s0, vcc_lo, s0
	v_cmp_gt_i32_e32 vcc_lo, 32, v12
	s_or_b32 s0, s1, s0
	s_delay_alu instid0(SALU_CYCLE_1) | instskip(SKIP_1) | instid1(VALU_DEP_2)
	v_cndmask_b32_e64 v20, 0, 1, s0
	v_cndmask_b32_e32 v12, v13, v12, vcc_lo
	v_cmp_eq_u32_e32 vcc_lo, v7, v20
	s_delay_alu instid0(VALU_DEP_2) | instskip(SKIP_4) | instid1(VALU_DEP_1)
	v_dual_lshlrev_b32 v12, 2, v12 :: v_dual_cndmask_b32 v18, v18, v21, vcc_lo
	v_cndmask_b32_e32 v19, v19, v22, vcc_lo
	ds_bpermute_b32 v20, v12, v18
	ds_bpermute_b32 v21, v12, v19
	v_and_b32_e32 v22, 16, v0
	v_cmp_ne_u32_e64 s2, 0, v22
	v_and_b32_e32 v22, 8, v0
	s_wait_dscnt 0x1
	v_cmp_ne_u32_e32 vcc_lo, v18, v20
	s_wait_dscnt 0x0
	v_cmp_ge_i32_e64 s0, v19, v21
	v_cmp_ge_i32_e64 s1, v18, v20
	s_or_b32 s0, vcc_lo, s0
	s_delay_alu instid0(SALU_CYCLE_1) | instskip(SKIP_2) | instid1(SALU_CYCLE_1)
	s_and_b32 s0, s1, s0
	v_cmp_ne_u32_e64 s1, 0, v22
	s_xor_b32 vcc_lo, s0, s2
	v_dual_cndmask_b32 v19, v19, v21, vcc_lo :: v_dual_bitop2_b32 v22, 4, v0 bitop3:0x40
	ds_bpermute_b32 v21, v4, v19
	v_cndmask_b32_e32 v18, v18, v20, vcc_lo
	ds_bpermute_b32 v20, v4, v18
	s_wait_dscnt 0x1
	v_cmp_ge_i32_e64 s0, v19, v21
	s_wait_dscnt 0x0
	v_cmp_ne_u32_e32 vcc_lo, v18, v20
	v_cmp_ge_i32_e64 s3, v18, v20
	s_or_b32 s0, vcc_lo, s0
	s_delay_alu instid0(SALU_CYCLE_1) | instskip(NEXT) | instid1(SALU_CYCLE_1)
	s_and_b32 s0, s3, s0
	s_xor_b32 vcc_lo, s0, s1
	v_cmp_ne_u32_e64 s0, 0, v22
	v_dual_cndmask_b32 v19, v19, v21 :: v_dual_cndmask_b32 v18, v18, v20
	v_and_b32_e32 v22, 2, v0
	ds_bpermute_b32 v21, v3, v19
	ds_bpermute_b32 v20, v3, v18
	s_wait_dscnt 0x1
	v_cmp_ge_i32_e64 s3, v19, v21
	s_wait_dscnt 0x0
	v_cmp_ne_u32_e32 vcc_lo, v18, v20
	v_cmp_ge_i32_e64 s4, v18, v20
	s_or_b32 s3, vcc_lo, s3
	s_delay_alu instid0(SALU_CYCLE_1) | instskip(NEXT) | instid1(SALU_CYCLE_1)
	s_and_b32 s3, s4, s3
	s_xor_b32 vcc_lo, s3, s0
	v_dual_cndmask_b32 v18, v18, v20 :: v_dual_cndmask_b32 v19, v19, v21
	v_cmp_ne_u32_e32 vcc_lo, 0, v22
	v_add_nc_u32_e32 v22, -1, v13
	ds_bpermute_b32 v20, v2, v18
	ds_bpermute_b32 v21, v2, v19
	s_wait_dscnt 0x1
	v_cmp_ne_u32_e64 s3, v18, v20
	s_wait_dscnt 0x0
	v_cmp_ge_i32_e64 s4, v19, v21
	v_cmp_ge_i32_e64 s5, v18, v20
	s_or_b32 s3, s3, s4
	s_delay_alu instid0(SALU_CYCLE_1) | instskip(NEXT) | instid1(SALU_CYCLE_1)
	s_and_b32 s3, s5, s3
	s_xor_b32 s3, s3, vcc_lo
	s_delay_alu instid0(SALU_CYCLE_1)
	v_dual_cndmask_b32 v18, v18, v20, s3 :: v_dual_cndmask_b32 v19, v19, v21, s3
	v_cmp_gt_i32_e64 s3, 0, v22
	v_and_b32_e32 v23, 1, v0
	ds_bpermute_b32 v20, v1, v18
	ds_bpermute_b32 v21, v1, v19
	v_cndmask_b32_e64 v13, v22, v13, s3
	v_cmp_eq_u32_e64 s3, 1, v23
	s_delay_alu instid0(VALU_DEP_2)
	v_lshlrev_b32_e32 v13, 2, v13
	s_wait_dscnt 0x1
	v_cmp_ne_u32_e64 s4, v18, v20
	s_wait_dscnt 0x0
	v_cmp_ge_i32_e64 s5, v19, v21
	v_cmp_ge_i32_e64 s6, v18, v20
	s_or_b32 s4, s4, s5
	v_cmp_ne_u32_e64 s5, 0, v6
	s_and_b32 s4, s6, s4
	s_delay_alu instid0(SALU_CYCLE_1) | instskip(NEXT) | instid1(SALU_CYCLE_1)
	s_xor_b32 s4, s4, s3
	v_dual_cndmask_b32 v18, v18, v20, s4 :: v_dual_cndmask_b32 v6, v19, v21, s4
	ds_bpermute_b32 v13, v13, v18
	s_wait_dscnt 0x0
	v_cmp_eq_u32_e64 s6, v13, v18
	ds_bpermute_b32 v18, v1, v6
	s_and_b32 s6, s5, s6
	s_delay_alu instid0(SALU_CYCLE_1)
	v_cndmask_b32_e64 v13, 0, 1, s6
	s_xor_b32 s7, s6, -1
	ds_bpermute_b32 v19, v1, v13
	s_wait_dscnt 0x1
	v_cmp_eq_u32_e64 s4, v6, v18
	v_cmp_lt_i32_e64 s6, v6, v18
	s_and_b32 s4, s4, s7
	s_wait_dscnt 0x0
	v_cmp_ne_u32_e64 s5, 0, v19
	s_and_b32 s4, s5, s4
	v_cndmask_b32_e64 v19, 0, 1, s5
	s_or_b32 s4, s6, s4
	s_delay_alu instid0(SALU_CYCLE_1) | instskip(NEXT) | instid1(VALU_DEP_1)
	v_cndmask_b32_e64 v20, 0, 1, s4
	v_cmp_eq_u32_e64 s4, v11, v20
	s_delay_alu instid0(VALU_DEP_1)
	v_dual_cndmask_b32 v11, v13, v19, s4 :: v_dual_cndmask_b32 v6, v6, v18, s4
	ds_bpermute_b32 v18, v2, v11
	ds_bpermute_b32 v13, v2, v6
	v_cmp_eq_u32_e64 s4, 0, v11
	s_wait_dscnt 0x1
	v_cmp_ne_u32_e64 s6, 0, v18
	s_wait_dscnt 0x0
	v_cmp_eq_u32_e64 s5, v6, v13
	v_cmp_lt_i32_e64 s7, v6, v13
	s_delay_alu instid0(VALU_DEP_3) | instskip(SKIP_1) | instid1(SALU_CYCLE_1)
	v_cndmask_b32_e64 v18, 0, 1, s6
	s_and_b32 s4, s5, s4
	s_and_b32 s4, s6, s4
	s_delay_alu instid0(SALU_CYCLE_1) | instskip(NEXT) | instid1(SALU_CYCLE_1)
	s_or_b32 s4, s7, s4
	v_cndmask_b32_e64 v19, 0, 1, s4
	s_delay_alu instid0(VALU_DEP_1) | instskip(NEXT) | instid1(VALU_DEP_1)
	v_cmp_eq_u32_e64 s4, v8, v19
	v_dual_cndmask_b32 v8, v11, v18, s4 :: v_dual_cndmask_b32 v6, v6, v13, s4
	ds_bpermute_b32 v13, v1, v8
	ds_bpermute_b32 v11, v1, v6
	v_cmp_eq_u32_e64 s4, 0, v8
	s_wait_dscnt 0x1
	v_cmp_ne_u32_e64 s6, 0, v13
	s_wait_dscnt 0x0
	v_cmp_eq_u32_e64 s5, v6, v11
	v_cmp_lt_i32_e64 s7, v6, v11
	s_delay_alu instid0(VALU_DEP_3) | instskip(SKIP_1) | instid1(SALU_CYCLE_1)
	v_cndmask_b32_e64 v13, 0, 1, s6
	s_and_b32 s4, s5, s4
	s_and_b32 s4, s6, s4
	s_delay_alu instid0(SALU_CYCLE_1) | instskip(NEXT) | instid1(SALU_CYCLE_1)
	s_or_b32 s4, s7, s4
	v_cndmask_b32_e64 v18, 0, 1, s4
	s_delay_alu instid0(VALU_DEP_1) | instskip(NEXT) | instid1(VALU_DEP_1)
	v_cmp_eq_u32_e64 s4, v16, v18
	v_dual_cndmask_b32 v6, v6, v11, s4 :: v_dual_cndmask_b32 v8, v8, v13, s4
	ds_bpermute_b32 v11, v3, v6
	ds_bpermute_b32 v13, v3, v8
	v_cmp_eq_u32_e64 s4, 0, v8
	s_wait_dscnt 0x1
	v_cmp_eq_u32_e64 s5, v6, v11
	s_wait_dscnt 0x0
	v_cmp_ne_u32_e64 s6, 0, v13
	v_cmp_lt_i32_e64 s7, v6, v11
	s_and_b32 s4, s5, s4
	v_cndmask_b32_e64 v13, 0, 1, s6
	s_and_b32 s4, s6, s4
	s_delay_alu instid0(SALU_CYCLE_1) | instskip(NEXT) | instid1(SALU_CYCLE_1)
	s_or_b32 s4, s7, s4
	v_cndmask_b32_e64 v16, 0, 1, s4
	s_delay_alu instid0(VALU_DEP_1) | instskip(NEXT) | instid1(VALU_DEP_1)
	v_cmp_eq_u32_e64 s4, v14, v16
	v_dual_cndmask_b32 v6, v6, v11, s4 :: v_dual_cndmask_b32 v8, v8, v13, s4
	ds_bpermute_b32 v11, v2, v6
	ds_bpermute_b32 v13, v2, v8
	v_cmp_eq_u32_e64 s4, 0, v8
	s_wait_dscnt 0x1
	v_cmp_eq_u32_e64 s5, v6, v11
	s_wait_dscnt 0x0
	v_cmp_ne_u32_e64 s6, 0, v13
	v_cmp_lt_i32_e64 s7, v6, v11
	s_and_b32 s4, s5, s4
	v_cndmask_b32_e64 v13, 0, 1, s6
	;; [unrolled: 17-line block ×8, first 2 shown]
	s_and_b32 s4, s6, s4
	s_delay_alu instid0(SALU_CYCLE_1) | instskip(NEXT) | instid1(SALU_CYCLE_1)
	s_or_b32 s4, s7, s4
	s_xor_b32 s2, s4, s2
	s_delay_alu instid0(VALU_DEP_1) | instid1(SALU_CYCLE_1)
	v_dual_cndmask_b32 v5, v7, v5, s2 :: v_dual_cndmask_b32 v6, v8, v6, s2
	ds_bpermute_b32 v7, v4, v5
	ds_bpermute_b32 v4, v4, v6
	v_cmp_eq_u32_e64 s2, 0, v6
	s_wait_dscnt 0x1
	v_cmp_eq_u32_e64 s4, v5, v7
	s_wait_dscnt 0x0
	v_cmp_ne_u32_e64 s5, 0, v4
	v_cmp_lt_i32_e64 s6, v5, v7
	s_and_b32 s2, s4, s2
	v_cndmask_b32_e64 v4, 0, 1, s5
	s_and_b32 s2, s5, s2
	s_delay_alu instid0(SALU_CYCLE_1) | instskip(NEXT) | instid1(SALU_CYCLE_1)
	s_or_b32 s2, s6, s2
	s_xor_b32 s1, s2, s1
	s_delay_alu instid0(VALU_DEP_1) | instid1(SALU_CYCLE_1)
	v_dual_cndmask_b32 v5, v7, v5, s1 :: v_dual_cndmask_b32 v4, v4, v6, s1
	ds_bpermute_b32 v6, v3, v5
	ds_bpermute_b32 v3, v3, v4
	v_cmp_eq_u32_e64 s1, 0, v4
	s_wait_dscnt 0x1
	v_cmp_eq_u32_e64 s2, v5, v6
	s_wait_dscnt 0x0
	v_cmp_ne_u32_e64 s4, 0, v3
	v_cmp_lt_i32_e64 s5, v5, v6
	s_and_b32 s1, s2, s1
	v_cndmask_b32_e64 v3, 0, 1, s4
	;; [unrolled: 16-line block ×3, first 2 shown]
	s_and_b32 s0, s2, s0
	s_delay_alu instid0(SALU_CYCLE_1) | instskip(NEXT) | instid1(SALU_CYCLE_1)
	s_or_b32 s0, s4, s0
	s_xor_b32 vcc_lo, s0, vcc_lo
	s_delay_alu instid0(VALU_DEP_1) | instid1(SALU_CYCLE_1)
	v_dual_cndmask_b32 v4, v4, v5, vcc_lo :: v_dual_cndmask_b32 v2, v2, v3, vcc_lo
	ds_bpermute_b32 v3, v1, v4
	ds_bpermute_b32 v1, v1, v2
	v_cmp_eq_u32_e32 vcc_lo, 0, v2
	s_wait_dscnt 0x1
	v_cmp_eq_u32_e64 s0, v4, v3
	s_wait_dscnt 0x0
	v_cmp_ne_u32_e64 s1, 0, v1
	v_cmp_lt_i32_e64 s2, v4, v3
	s_and_b32 s0, s0, vcc_lo
	s_delay_alu instid0(SALU_CYCLE_1) | instskip(SKIP_2) | instid1(SALU_CYCLE_1)
	s_and_b32 s0, s1, s0
	s_mov_b32 s1, exec_lo
	s_or_b32 s0, s2, s0
	s_xor_b32 vcc_lo, s0, s3
	v_cndmask_b32_e32 v1, v1, v2, vcc_lo
	s_delay_alu instid0(VALU_DEP_1)
	v_cmp_ne_u32_e64 s0, 0, v1
	v_cmpx_eq_u32_e32 0, v0
	s_cbranch_execz .LBB1_2
; %bb.1:
	v_dual_mov_b32 v0, 0 :: v_dual_mov_b32 v1, s0
	s_get_pc_i64 s[2:3]
	s_add_nc_u64 s[2:3], s[2:3], duplicateMask@rel64+4
	global_store_b32 v0, v1, s[2:3]
.LBB1_2:
	s_endpgm
	.section	.rodata,"a",@progbits
	.p2align	6, 0x0
	.amdhsa_kernel _Z18checkDuplicateMaskiPKi
		.amdhsa_group_segment_fixed_size 0
		.amdhsa_private_segment_fixed_size 0
		.amdhsa_kernarg_size 16
		.amdhsa_user_sgpr_count 2
		.amdhsa_user_sgpr_dispatch_ptr 0
		.amdhsa_user_sgpr_queue_ptr 0
		.amdhsa_user_sgpr_kernarg_segment_ptr 1
		.amdhsa_user_sgpr_dispatch_id 0
		.amdhsa_user_sgpr_kernarg_preload_length 0
		.amdhsa_user_sgpr_kernarg_preload_offset 0
		.amdhsa_user_sgpr_private_segment_size 0
		.amdhsa_wavefront_size32 1
		.amdhsa_uses_dynamic_stack 0
		.amdhsa_enable_private_segment 0
		.amdhsa_system_sgpr_workgroup_id_x 1
		.amdhsa_system_sgpr_workgroup_id_y 0
		.amdhsa_system_sgpr_workgroup_id_z 0
		.amdhsa_system_sgpr_workgroup_info 0
		.amdhsa_system_vgpr_workitem_id 0
		.amdhsa_next_free_vgpr 24
		.amdhsa_next_free_sgpr 8
		.amdhsa_named_barrier_count 0
		.amdhsa_reserve_vcc 1
		.amdhsa_float_round_mode_32 0
		.amdhsa_float_round_mode_16_64 0
		.amdhsa_float_denorm_mode_32 3
		.amdhsa_float_denorm_mode_16_64 3
		.amdhsa_fp16_overflow 0
		.amdhsa_memory_ordered 1
		.amdhsa_forward_progress 1
		.amdhsa_inst_pref_size 25
		.amdhsa_round_robin_scheduling 0
		.amdhsa_exception_fp_ieee_invalid_op 0
		.amdhsa_exception_fp_denorm_src 0
		.amdhsa_exception_fp_ieee_div_zero 0
		.amdhsa_exception_fp_ieee_overflow 0
		.amdhsa_exception_fp_ieee_underflow 0
		.amdhsa_exception_fp_ieee_inexact 0
		.amdhsa_exception_int_div_zero 0
	.end_amdhsa_kernel
	.text
.Lfunc_end1:
	.size	_Z18checkDuplicateMaskiPKi, .Lfunc_end1-_Z18checkDuplicateMaskiPKi
                                        ; -- End function
	.set _Z18checkDuplicateMaskiPKi.num_vgpr, 24
	.set _Z18checkDuplicateMaskiPKi.num_agpr, 0
	.set _Z18checkDuplicateMaskiPKi.numbered_sgpr, 8
	.set _Z18checkDuplicateMaskiPKi.num_named_barrier, 0
	.set _Z18checkDuplicateMaskiPKi.private_seg_size, 0
	.set _Z18checkDuplicateMaskiPKi.uses_vcc, 1
	.set _Z18checkDuplicateMaskiPKi.uses_flat_scratch, 0
	.set _Z18checkDuplicateMaskiPKi.has_dyn_sized_stack, 0
	.set _Z18checkDuplicateMaskiPKi.has_recursion, 0
	.set _Z18checkDuplicateMaskiPKi.has_indirect_call, 0
	.section	.AMDGPU.csdata,"",@progbits
; Kernel info:
; codeLenInByte = 3200
; TotalNumSgprs: 10
; NumVgprs: 24
; ScratchSize: 0
; MemoryBound: 0
; FloatMode: 240
; IeeeMode: 1
; LDSByteSize: 0 bytes/workgroup (compile time only)
; SGPRBlocks: 0
; VGPRBlocks: 1
; NumSGPRsForWavesPerEU: 10
; NumVGPRsForWavesPerEU: 24
; NamedBarCnt: 0
; Occupancy: 16
; WaveLimiterHint : 0
; COMPUTE_PGM_RSRC2:SCRATCH_EN: 0
; COMPUTE_PGM_RSRC2:USER_SGPR: 2
; COMPUTE_PGM_RSRC2:TRAP_HANDLER: 0
; COMPUTE_PGM_RSRC2:TGID_X_EN: 1
; COMPUTE_PGM_RSRC2:TGID_Y_EN: 0
; COMPUTE_PGM_RSRC2:TGID_Z_EN: 0
; COMPUTE_PGM_RSRC2:TIDIG_COMP_CNT: 0
	.text
	.p2alignl 7, 3214868480
	.fill 96, 4, 3214868480
	.section	.AMDGPU.gpr_maximums,"",@progbits
	.set amdgpu.max_num_vgpr, 0
	.set amdgpu.max_num_agpr, 0
	.set amdgpu.max_num_sgpr, 0
	.text
	.protected	hasDuplicate            ; @hasDuplicate
	.type	hasDuplicate,@object
	.section	.bss,"aw",@nobits
	.globl	hasDuplicate
	.p2align	4, 0x0
hasDuplicate:
	.zero	128
	.size	hasDuplicate, 128

	.protected	duplicateMask           ; @duplicateMask
	.type	duplicateMask,@object
	.globl	duplicateMask
	.p2align	2, 0x0
duplicateMask:
	.long	0                               ; 0x0
	.size	duplicateMask, 4

	.type	__hip_cuid_d0d9d0608cdbdd14,@object ; @__hip_cuid_d0d9d0608cdbdd14
	.globl	__hip_cuid_d0d9d0608cdbdd14
__hip_cuid_d0d9d0608cdbdd14:
	.byte	0                               ; 0x0
	.size	__hip_cuid_d0d9d0608cdbdd14, 1

	.ident	"AMD clang version 22.0.0git (https://github.com/RadeonOpenCompute/llvm-project roc-7.2.4 26084 f58b06dce1f9c15707c5f808fd002e18c2accf7e)"
	.section	".note.GNU-stack","",@progbits
	.addrsig
	.addrsig_sym hasDuplicate
	.addrsig_sym duplicateMask
	.addrsig_sym __hip_cuid_d0d9d0608cdbdd14
	.amdgpu_metadata
---
amdhsa.kernels:
  - .args:
      - .offset:         0
        .size:           4
        .value_kind:     by_value
      - .address_space:  global
        .offset:         8
        .size:           8
        .value_kind:     global_buffer
    .group_segment_fixed_size: 0
    .kernarg_segment_align: 8
    .kernarg_segment_size: 16
    .language:       OpenCL C
    .language_version:
      - 2
      - 0
    .max_flat_workgroup_size: 1024
    .name:           _Z15checkDuplicatesiPKi
    .private_segment_fixed_size: 0
    .sgpr_count:     4
    .sgpr_spill_count: 0
    .symbol:         _Z15checkDuplicatesiPKi.kd
    .uniform_work_group_size: 1
    .uses_dynamic_stack: false
    .vgpr_count:     13
    .vgpr_spill_count: 0
    .wavefront_size: 32
  - .args:
      - .offset:         0
        .size:           4
        .value_kind:     by_value
      - .address_space:  global
        .offset:         8
        .size:           8
        .value_kind:     global_buffer
    .group_segment_fixed_size: 0
    .kernarg_segment_align: 8
    .kernarg_segment_size: 16
    .language:       OpenCL C
    .language_version:
      - 2
      - 0
    .max_flat_workgroup_size: 1024
    .name:           _Z18checkDuplicateMaskiPKi
    .private_segment_fixed_size: 0
    .sgpr_count:     10
    .sgpr_spill_count: 0
    .symbol:         _Z18checkDuplicateMaskiPKi.kd
    .uniform_work_group_size: 1
    .uses_dynamic_stack: false
    .vgpr_count:     24
    .vgpr_spill_count: 0
    .wavefront_size: 32
amdhsa.target:   amdgcn-amd-amdhsa--gfx1250
amdhsa.version:
  - 1
  - 2
...

	.end_amdgpu_metadata
